;; amdgpu-corpus repo=ROCm/rocFFT kind=compiled arch=gfx1030 opt=O3
	.text
	.amdgcn_target "amdgcn-amd-amdhsa--gfx1030"
	.amdhsa_code_object_version 6
	.protected	bluestein_single_back_len1050_dim1_dp_op_CI_CI ; -- Begin function bluestein_single_back_len1050_dim1_dp_op_CI_CI
	.globl	bluestein_single_back_len1050_dim1_dp_op_CI_CI
	.p2align	8
	.type	bluestein_single_back_len1050_dim1_dp_op_CI_CI,@function
bluestein_single_back_len1050_dim1_dp_op_CI_CI: ; @bluestein_single_back_len1050_dim1_dp_op_CI_CI
; %bb.0:
	s_load_dwordx4 s[8:11], s[4:5], 0x28
	v_mul_u32_u24_e32 v1, 0x139, v0
	v_mov_b32_e32 v109, 0
	s_mov_b32 s0, exec_lo
	v_lshrrev_b32_e32 v1, 16, v1
	v_add_nc_u32_e32 v108, s6, v1
	s_waitcnt lgkmcnt(0)
	v_cmpx_gt_u64_e64 s[8:9], v[108:109]
	s_cbranch_execz .LBB0_31
; %bb.1:
	s_clause 0x1
	s_load_dwordx4 s[0:3], s[4:5], 0x18
	s_load_dwordx2 s[6:7], s[4:5], 0x0
	v_mul_lo_u16 v1, 0xd2, v1
	v_sub_nc_u16 v50, v0, v1
	v_and_b32_e32 v124, 0xffff, v50
	v_lshlrev_b32_e32 v121, 4, v124
	s_waitcnt lgkmcnt(0)
	s_load_dwordx4 s[12:15], s[0:1], 0x0
	v_add_co_u32 v122, s0, s6, v121
	v_add_co_ci_u32_e64 v123, null, s7, 0, s0
	global_load_dwordx4 v[0:3], v121, s[6:7]
	v_add_co_u32 v4, vcc_lo, 0x2000, v122
	v_add_co_ci_u32_e32 v5, vcc_lo, 0, v123, vcc_lo
	v_add_co_u32 v12, vcc_lo, 0x800, v122
	v_add_co_ci_u32_e32 v13, vcc_lo, 0, v123, vcc_lo
	v_add_co_u32 v30, vcc_lo, 0x2800, v122
	v_add_co_ci_u32_e32 v31, vcc_lo, 0, v123, vcc_lo
	s_waitcnt lgkmcnt(0)
	v_mad_u64_u32 v[8:9], null, s14, v108, 0
	v_mad_u64_u32 v[10:11], null, s12, v124, 0
	s_mul_i32 s1, s13, 0x20d
	s_mul_hi_u32 s7, s12, 0x20d
	s_mul_i32 s0, s12, 0x20d
	s_mul_hi_u32 s9, s12, 0xfffffec5
	v_mov_b32_e32 v6, v9
	s_add_i32 s1, s7, s1
	v_mov_b32_e32 v7, v11
	s_mul_i32 s8, s13, 0xfffffec5
	s_mul_i32 s6, s12, 0xfffffec5
	s_sub_i32 s7, s9, s12
	v_mad_u64_u32 v[14:15], null, s15, v108, v[6:7]
	v_mad_u64_u32 v[15:16], null, s13, v124, v[7:8]
	s_lshl_b64 s[12:13], s[0:1], 4
	s_add_i32 s7, s7, s8
	global_load_dwordx4 v[4:7], v[4:5], off offset:208
	s_lshl_b64 s[0:1], s[6:7], 4
	v_mov_b32_e32 v9, v14
	v_mov_b32_e32 v11, v15
	v_lshlrev_b64 v[8:9], 4, v[8:9]
	v_lshlrev_b64 v[10:11], 4, v[10:11]
	v_add_co_u32 v8, vcc_lo, s10, v8
	v_add_co_ci_u32_e32 v9, vcc_lo, s11, v9, vcc_lo
	v_add_co_u32 v8, vcc_lo, v8, v10
	v_add_co_ci_u32_e32 v9, vcc_lo, v9, v11, vcc_lo
	;; [unrolled: 2-line block ×3, first 2 shown]
	global_load_dwordx4 v[18:21], v[8:9], off
	v_add_co_u32 v14, vcc_lo, v10, s0
	v_add_co_ci_u32_e32 v15, vcc_lo, s1, v11, vcc_lo
	v_add_co_u32 v16, vcc_lo, v14, s12
	v_add_co_ci_u32_e32 v17, vcc_lo, s13, v15, vcc_lo
	s_clause 0x1
	global_load_dwordx4 v[22:25], v[10:11], off
	global_load_dwordx4 v[26:29], v[14:15], off
	s_clause 0x1
	global_load_dwordx4 v[8:11], v[12:13], off offset:1312
	global_load_dwordx4 v[12:15], v[30:31], off offset:1520
	global_load_dwordx4 v[30:33], v[16:17], off
	s_load_dwordx2 s[6:7], s[4:5], 0x38
	s_load_dwordx4 s[8:11], s[2:3], 0x0
	v_cmp_gt_u16_e32 vcc_lo, 0x69, v50
	s_waitcnt vmcnt(5)
	v_mul_f64 v[34:35], v[20:21], v[2:3]
	v_mul_f64 v[36:37], v[18:19], v[2:3]
	s_waitcnt vmcnt(4)
	v_mul_f64 v[38:39], v[24:25], v[6:7]
	v_mul_f64 v[40:41], v[22:23], v[6:7]
	;; [unrolled: 3-line block ×4, first 2 shown]
	v_fma_f64 v[18:19], v[18:19], v[0:1], v[34:35]
	v_fma_f64 v[20:21], v[20:21], v[0:1], -v[36:37]
	v_fma_f64 v[22:23], v[22:23], v[4:5], v[38:39]
	v_fma_f64 v[24:25], v[24:25], v[4:5], -v[40:41]
	;; [unrolled: 2-line block ×4, first 2 shown]
	ds_write_b128 v121, v[18:21]
	ds_write_b128 v121, v[22:25] offset:8400
	ds_write_b128 v121, v[26:29] offset:3360
	;; [unrolled: 1-line block ×3, first 2 shown]
	s_and_saveexec_b32 s2, vcc_lo
	s_cbranch_execz .LBB0_3
; %bb.2:
	v_add_co_u32 v16, s0, v16, s0
	v_add_co_ci_u32_e64 v17, s0, s1, v17, s0
	v_add_co_u32 v20, s0, 0x1800, v122
	v_add_co_ci_u32_e64 v21, s0, 0, v123, s0
	;; [unrolled: 2-line block ×4, first 2 shown]
	global_load_dwordx4 v[16:19], v[16:17], off
	s_clause 0x1
	global_load_dwordx4 v[20:23], v[20:21], off offset:576
	global_load_dwordx4 v[24:27], v[24:25], off offset:784
	global_load_dwordx4 v[28:31], v[28:29], off
	s_waitcnt vmcnt(2)
	v_mul_f64 v[32:33], v[18:19], v[22:23]
	v_mul_f64 v[22:23], v[16:17], v[22:23]
	s_waitcnt vmcnt(0)
	v_mul_f64 v[34:35], v[30:31], v[26:27]
	v_mul_f64 v[26:27], v[28:29], v[26:27]
	v_fma_f64 v[16:17], v[16:17], v[20:21], v[32:33]
	v_fma_f64 v[18:19], v[18:19], v[20:21], -v[22:23]
	v_fma_f64 v[20:21], v[28:29], v[24:25], v[34:35]
	v_fma_f64 v[22:23], v[30:31], v[24:25], -v[26:27]
	ds_write_b128 v121, v[16:19] offset:6720
	ds_write_b128 v121, v[20:23] offset:15120
.LBB0_3:
	s_or_b32 exec_lo, exec_lo, s2
	s_waitcnt lgkmcnt(0)
	s_barrier
	buffer_gl0_inv
	ds_read_b128 v[16:19], v121
	ds_read_b128 v[20:23], v121 offset:3360
	ds_read_b128 v[36:39], v121 offset:8400
	;; [unrolled: 1-line block ×3, first 2 shown]
                                        ; implicit-def: $vgpr28_vgpr29
                                        ; implicit-def: $vgpr32_vgpr33
	s_and_saveexec_b32 s0, vcc_lo
	s_cbranch_execz .LBB0_5
; %bb.4:
	ds_read_b128 v[28:31], v121 offset:6720
	ds_read_b128 v[32:35], v121 offset:15120
.LBB0_5:
	s_or_b32 exec_lo, exec_lo, s0
	s_waitcnt lgkmcnt(0)
	v_add_f64 v[32:33], v[28:29], -v[32:33]
	v_add_f64 v[34:35], v[30:31], -v[34:35]
	;; [unrolled: 1-line block ×6, first 2 shown]
	s_load_dwordx2 s[2:3], s[4:5], 0x8
	v_lshlrev_b16 v40, 1, v124
	v_mov_b32_e32 v41, 4
	v_add_co_u32 v48, null, 0xd2, v124
	v_add_co_u32 v42, null, 0x1a4, v124
	v_lshlrev_b32_sdwa v127, v41, v40 dst_sel:DWORD dst_unused:UNUSED_PAD src0_sel:DWORD src1_sel:WORD_0
	v_lshlrev_b32_e32 v128, 5, v48
	s_waitcnt lgkmcnt(0)
	v_lshlrev_b32_e32 v126, 5, v42
	s_barrier
	buffer_gl0_inv
	v_fma_f64 v[28:29], v[28:29], 2.0, -v[32:33]
	v_fma_f64 v[30:31], v[30:31], 2.0, -v[34:35]
	;; [unrolled: 1-line block ×6, first 2 shown]
	ds_write_b128 v127, v[36:39] offset:16
	ds_write_b128 v127, v[16:19]
	ds_write_b128 v128, v[20:23]
	ds_write_b128 v128, v[24:27] offset:16
	s_and_saveexec_b32 s0, vcc_lo
	s_cbranch_execz .LBB0_7
; %bb.6:
	ds_write_b128 v126, v[28:31]
	ds_write_b128 v126, v[32:35] offset:16
.LBB0_7:
	s_or_b32 exec_lo, exec_lo, s0
	s_waitcnt lgkmcnt(0)
	s_barrier
	buffer_gl0_inv
	ds_read_b128 v[36:39], v121
	ds_read_b128 v[44:47], v121 offset:5600
	ds_read_b128 v[40:43], v121 offset:11200
	v_cmp_gt_u16_e64 s0, 0x8c, v124
	s_and_saveexec_b32 s1, s0
	s_cbranch_execz .LBB0_9
; %bb.8:
	ds_read_b128 v[24:27], v121 offset:3360
	ds_read_b128 v[28:31], v121 offset:8960
	ds_read_b128 v[32:35], v121 offset:14560
.LBB0_9:
	s_or_b32 exec_lo, exec_lo, s1
	v_and_b32_e32 v125, 1, v124
	s_mov_b32 s4, 0xe8584caa
	s_mov_b32 s5, 0x3febb67a
	;; [unrolled: 1-line block ×4, first 2 shown]
	v_lshlrev_b32_e32 v16, 5, v125
	v_lshrrev_b32_e32 v129, 1, v48
	s_clause 0x1
	global_load_dwordx4 v[20:23], v16, s[2:3]
	global_load_dwordx4 v[16:19], v16, s[2:3] offset:16
	s_waitcnt vmcnt(0) lgkmcnt(0)
	s_barrier
	buffer_gl0_inv
	v_mul_f64 v[49:50], v[46:47], v[22:23]
	v_mul_f64 v[51:52], v[44:45], v[22:23]
	;; [unrolled: 1-line block ×8, first 2 shown]
	v_fma_f64 v[44:45], v[44:45], v[20:21], -v[49:50]
	v_fma_f64 v[46:47], v[46:47], v[20:21], v[51:52]
	v_fma_f64 v[49:50], v[40:41], v[16:17], -v[53:54]
	v_fma_f64 v[51:52], v[42:43], v[16:17], v[55:56]
	;; [unrolled: 2-line block ×4, first 2 shown]
	v_add_f64 v[59:60], v[36:37], v[44:45]
	v_add_f64 v[32:33], v[44:45], v[49:50]
	;; [unrolled: 1-line block ×3, first 2 shown]
	v_add_f64 v[61:62], v[46:47], -v[51:52]
	v_add_f64 v[46:47], v[38:39], v[46:47]
	v_add_f64 v[55:56], v[40:41], v[28:29]
	;; [unrolled: 1-line block ×3, first 2 shown]
	v_add_f64 v[34:35], v[42:43], -v[30:31]
	v_add_f64 v[63:64], v[44:45], -v[49:50]
	v_add_f64 v[44:45], v[59:60], v[49:50]
	v_fma_f64 v[65:66], v[32:33], -0.5, v[36:37]
	v_fma_f64 v[67:68], v[53:54], -0.5, v[38:39]
	v_add_f64 v[38:39], v[40:41], -v[28:29]
	v_add_f64 v[46:47], v[46:47], v[51:52]
	v_fma_f64 v[32:33], v[55:56], -0.5, v[24:25]
	v_fma_f64 v[36:37], v[57:58], -0.5, v[26:27]
	v_lshrrev_b32_e32 v57, 1, v124
	v_mul_u32_u24_e32 v57, 6, v57
	v_or_b32_e32 v57, v57, v125
	v_lshlrev_b32_e32 v130, 4, v57
	v_fma_f64 v[49:50], v[61:62], s[4:5], v[65:66]
	v_fma_f64 v[51:52], v[63:64], s[12:13], v[67:68]
	;; [unrolled: 1-line block ×6, first 2 shown]
	ds_write_b128 v130, v[44:47]
	ds_write_b128 v130, v[49:52] offset:32
	ds_write_b128 v130, v[53:56] offset:64
	s_and_saveexec_b32 s1, s0
	s_cbranch_execz .LBB0_11
; %bb.10:
	v_add_f64 v[42:43], v[26:27], v[42:43]
	v_add_f64 v[24:25], v[24:25], v[40:41]
	v_mul_f64 v[38:39], v[38:39], s[4:5]
	v_mul_f64 v[34:35], v[34:35], s[4:5]
	v_add_f64 v[30:31], v[42:43], v[30:31]
	v_add_f64 v[28:29], v[24:25], v[28:29]
	v_add_f64 v[26:27], v[36:37], -v[38:39]
	v_add_f64 v[24:25], v[34:35], v[32:33]
	v_mul_u32_u24_e32 v32, 6, v129
	v_or_b32_e32 v32, v32, v125
	v_lshlrev_b32_e32 v32, 4, v32
	ds_write_b128 v32, v[28:31]
	ds_write_b128 v32, v[24:27] offset:32
	ds_write_b128 v32, v[80:83] offset:64
.LBB0_11:
	s_or_b32 exec_lo, exec_lo, s1
	v_and_b32_e32 v96, 0xff, v124
	s_waitcnt lgkmcnt(0)
	s_barrier
	buffer_gl0_inv
	s_mov_b32 s4, 0x134454ff
	v_mul_lo_u16 v24, 0xab, v96
	s_mov_b32 s5, 0x3fee6f0e
	s_mov_b32 s13, 0xbfee6f0e
	;; [unrolled: 1-line block ×4, first 2 shown]
	v_lshrrev_b16 v97, 10, v24
	s_mov_b32 s15, 0x3fe2cf23
	s_mov_b32 s17, 0xbfe2cf23
	;; [unrolled: 1-line block ×4, first 2 shown]
	v_mul_lo_u16 v24, v97, 6
	s_mov_b32 s19, 0x3fd3c6ef
	v_cmp_gt_u16_e64 s1, 0x96, v124
	v_sub_nc_u16 v24, v124, v24
	v_and_b32_e32 v98, 0xff, v24
	v_lshlrev_b32_e32 v24, 6, v98
	s_clause 0x3
	global_load_dwordx4 v[36:39], v24, s[2:3] offset:64
	global_load_dwordx4 v[32:35], v24, s[2:3] offset:80
	global_load_dwordx4 v[28:31], v24, s[2:3] offset:96
	global_load_dwordx4 v[24:27], v24, s[2:3] offset:112
	ds_read_b128 v[40:43], v121 offset:3360
	ds_read_b128 v[44:47], v121 offset:6720
	;; [unrolled: 1-line block ×4, first 2 shown]
	ds_read_b128 v[56:59], v121
	s_waitcnt vmcnt(0) lgkmcnt(0)
	s_barrier
	buffer_gl0_inv
	v_mul_f64 v[60:61], v[42:43], v[38:39]
	v_mul_f64 v[62:63], v[46:47], v[34:35]
	;; [unrolled: 1-line block ×8, first 2 shown]
	v_fma_f64 v[40:41], v[40:41], v[36:37], -v[60:61]
	v_fma_f64 v[44:45], v[44:45], v[32:33], -v[62:63]
	;; [unrolled: 1-line block ×3, first 2 shown]
	v_fma_f64 v[46:47], v[46:47], v[32:33], v[70:71]
	v_fma_f64 v[50:51], v[50:51], v[28:29], v[72:73]
	;; [unrolled: 1-line block ×3, first 2 shown]
	v_fma_f64 v[52:53], v[52:53], v[24:25], -v[68:69]
	v_fma_f64 v[54:55], v[54:55], v[24:25], v[74:75]
	v_add_f64 v[68:69], v[56:57], v[40:41]
	v_add_f64 v[60:61], v[44:45], v[48:49]
	;; [unrolled: 1-line block ×6, first 2 shown]
	v_add_f64 v[70:71], v[42:43], -v[54:55]
	v_add_f64 v[76:77], v[40:41], -v[52:53]
	;; [unrolled: 1-line block ×9, first 2 shown]
	v_fma_f64 v[60:61], v[60:61], -0.5, v[56:57]
	v_fma_f64 v[64:65], v[64:65], -0.5, v[58:59]
	v_add_f64 v[46:47], v[74:75], v[46:47]
	v_fma_f64 v[56:57], v[62:63], -0.5, v[56:57]
	v_add_f64 v[62:63], v[44:45], -v[48:49]
	v_fma_f64 v[58:59], v[66:67], -0.5, v[58:59]
	v_add_f64 v[66:67], v[40:41], -v[44:45]
	v_add_f64 v[40:41], v[44:45], -v[40:41]
	v_add_f64 v[44:45], v[68:69], v[44:45]
	v_fma_f64 v[68:69], v[70:71], s[4:5], v[60:61]
	v_fma_f64 v[60:61], v[70:71], s[12:13], v[60:61]
	;; [unrolled: 1-line block ×8, first 2 shown]
	v_add_f64 v[66:67], v[66:67], v[78:79]
	v_add_f64 v[78:79], v[40:41], v[84:85]
	;; [unrolled: 1-line block ×6, first 2 shown]
	v_mul_lo_u16 v48, 0x89, v96
	v_lshrrev_b16 v113, 12, v48
	v_fma_f64 v[44:45], v[72:73], s[14:15], v[68:69]
	v_fma_f64 v[46:47], v[72:73], s[16:17], v[60:61]
	;; [unrolled: 1-line block ×8, first 2 shown]
	v_mul_lo_u16 v64, v113, 30
	v_add_f64 v[40:41], v[40:41], v[52:53]
	v_add_f64 v[42:43], v[42:43], v[54:55]
	v_fma_f64 v[44:45], v[66:67], s[18:19], v[44:45]
	v_fma_f64 v[48:49], v[66:67], s[18:19], v[46:47]
	;; [unrolled: 1-line block ×3, first 2 shown]
	v_mov_b32_e32 v60, 30
	v_fma_f64 v[52:53], v[78:79], s[18:19], v[50:51]
	v_fma_f64 v[56:57], v[78:79], s[18:19], v[56:57]
	;; [unrolled: 1-line block ×5, first 2 shown]
	v_sub_nc_u16 v61, v124, v64
	v_mul_u32_u24_sdwa v60, v97, v60 dst_sel:DWORD dst_unused:UNUSED_PAD src0_sel:WORD_0 src1_sel:DWORD
	v_and_b32_e32 v114, 0xff, v61
	v_add_lshl_u32 v131, v60, v98, 4
	ds_write_b128 v131, v[40:43]
	ds_write_b128 v131, v[44:47] offset:96
	ds_write_b128 v131, v[52:55] offset:192
	;; [unrolled: 1-line block ×4, first 2 shown]
	v_lshlrev_b32_e32 v60, 6, v114
	s_waitcnt lgkmcnt(0)
	s_barrier
	buffer_gl0_inv
	s_clause 0x3
	global_load_dwordx4 v[52:55], v60, s[2:3] offset:448
	global_load_dwordx4 v[48:51], v60, s[2:3] offset:464
	;; [unrolled: 1-line block ×4, first 2 shown]
	ds_read_b128 v[56:59], v121 offset:3360
	ds_read_b128 v[60:63], v121 offset:6720
	;; [unrolled: 1-line block ×4, first 2 shown]
	ds_read_b128 v[72:75], v121
	s_waitcnt vmcnt(0) lgkmcnt(0)
	s_barrier
	buffer_gl0_inv
	v_mul_f64 v[76:77], v[58:59], v[54:55]
	v_mul_f64 v[78:79], v[62:63], v[50:51]
	;; [unrolled: 1-line block ×8, first 2 shown]
	v_fma_f64 v[56:57], v[56:57], v[52:53], -v[76:77]
	v_fma_f64 v[60:61], v[60:61], v[48:49], -v[78:79]
	;; [unrolled: 1-line block ×3, first 2 shown]
	v_fma_f64 v[58:59], v[58:59], v[52:53], v[86:87]
	v_fma_f64 v[68:69], v[68:69], v[40:41], -v[88:89]
	v_fma_f64 v[62:63], v[62:63], v[48:49], v[90:91]
	v_fma_f64 v[66:67], v[66:67], v[44:45], v[92:93]
	;; [unrolled: 1-line block ×3, first 2 shown]
	v_add_f64 v[88:89], v[72:73], v[56:57]
	v_add_f64 v[76:77], v[60:61], v[64:65]
	;; [unrolled: 1-line block ×4, first 2 shown]
	v_add_f64 v[96:97], v[56:57], -v[68:69]
	v_add_f64 v[84:85], v[62:63], v[66:67]
	v_add_f64 v[86:87], v[58:59], v[70:71]
	v_add_f64 v[92:93], v[58:59], -v[70:71]
	v_add_f64 v[94:95], v[62:63], -v[66:67]
	;; [unrolled: 1-line block ×8, first 2 shown]
	v_fma_f64 v[76:77], v[76:77], -0.5, v[72:73]
	v_add_f64 v[62:63], v[90:91], v[62:63]
	v_fma_f64 v[72:73], v[78:79], -0.5, v[72:73]
	v_add_f64 v[78:79], v[60:61], -v[64:65]
	v_fma_f64 v[84:85], v[84:85], -0.5, v[74:75]
	v_fma_f64 v[74:75], v[86:87], -0.5, v[74:75]
	v_add_f64 v[86:87], v[56:57], -v[60:61]
	v_add_f64 v[56:57], v[60:61], -v[56:57]
	v_add_f64 v[60:61], v[88:89], v[60:61]
	v_add_f64 v[102:103], v[102:103], v[104:105]
                                        ; implicit-def: $vgpr104_vgpr105
	v_add_f64 v[58:59], v[58:59], v[106:107]
	v_fma_f64 v[88:89], v[92:93], s[4:5], v[76:77]
	v_fma_f64 v[76:77], v[92:93], s[12:13], v[76:77]
	;; [unrolled: 1-line block ×8, first 2 shown]
	v_add_f64 v[98:99], v[86:87], v[98:99]
	v_add_f64 v[56:57], v[56:57], v[100:101]
	;; [unrolled: 1-line block ×4, first 2 shown]
	v_fma_f64 v[64:65], v[94:95], s[14:15], v[88:89]
	v_fma_f64 v[66:67], v[94:95], s[16:17], v[76:77]
	;; [unrolled: 1-line block ×8, first 2 shown]
	v_add_f64 v[84:85], v[60:61], v[68:69]
	v_add_f64 v[86:87], v[62:63], v[70:71]
	v_fma_f64 v[88:89], v[98:99], s[18:19], v[64:65]
	v_fma_f64 v[100:101], v[98:99], s[18:19], v[66:67]
	v_fma_f64 v[92:93], v[56:57], s[18:19], v[76:77]
	v_fma_f64 v[96:97], v[56:57], s[18:19], v[72:73]
	v_fma_f64 v[90:91], v[102:103], s[18:19], v[90:91]
	v_fma_f64 v[94:95], v[58:59], s[18:19], v[94:95]
	v_fma_f64 v[98:99], v[58:59], s[18:19], v[74:75]
	v_fma_f64 v[102:103], v[102:103], s[18:19], v[78:79]
	v_mov_b32_e32 v56, 0x96
	v_mul_u32_u24_sdwa v56, v113, v56 dst_sel:DWORD dst_unused:UNUSED_PAD src0_sel:WORD_0 src1_sel:DWORD
	v_add_lshl_u32 v132, v56, v114, 4
	ds_write_b128 v132, v[84:87]
	ds_write_b128 v132, v[88:91] offset:480
	ds_write_b128 v132, v[92:95] offset:960
	;; [unrolled: 1-line block ×4, first 2 shown]
	s_waitcnt lgkmcnt(0)
	s_barrier
	buffer_gl0_inv
	s_and_saveexec_b32 s4, s1
	s_cbranch_execz .LBB0_13
; %bb.12:
	ds_read_b128 v[84:87], v121
	ds_read_b128 v[88:91], v121 offset:2400
	ds_read_b128 v[92:95], v121 offset:4800
	;; [unrolled: 1-line block ×6, first 2 shown]
.LBB0_13:
	s_or_b32 exec_lo, exec_lo, s4
	v_add_nc_u32_e32 v56, 0xffffff6a, v124
	s_mov_b32 s12, 0x37e14327
	s_mov_b32 s13, 0x3fe948f6
	;; [unrolled: 1-line block ×4, first 2 shown]
	v_cndmask_b32_e64 v56, v56, v124, s1
	s_mov_b32 s17, 0x3fd5d0dc
	s_mov_b32 s16, 0xb247c609
	v_mul_i32_i24_e32 v57, 0x60, v56
	v_mul_hi_i32_i24_e32 v56, 0x60, v56
	v_add_co_u32 v57, s2, s2, v57
	v_add_co_ci_u32_e64 v56, s2, s3, v56, s2
	v_add_co_u32 v66, s3, 0x800, v57
	v_add_co_u32 v64, s2, 0x940, v57
	;; [unrolled: 1-line block ×3, first 2 shown]
	v_add_co_ci_u32_e64 v67, s3, 0, v56, s3
	v_add_co_ci_u32_e64 v65, s2, 0, v56, s2
	;; [unrolled: 1-line block ×3, first 2 shown]
	s_clause 0x5
	global_load_dwordx4 v[60:63], v[66:67], off offset:320
	global_load_dwordx4 v[56:59], v[64:65], off offset:16
	;; [unrolled: 1-line block ×6, first 2 shown]
	s_mov_b32 s4, 0xe976ee23
	s_mov_b32 s2, 0x36b3c0b5
	;; [unrolled: 1-line block ×4, first 2 shown]
	s_waitcnt vmcnt(5) lgkmcnt(5)
	v_mul_f64 v[109:110], v[90:91], v[62:63]
	v_mul_f64 v[111:112], v[88:89], v[62:63]
	s_waitcnt vmcnt(4) lgkmcnt(4)
	v_mul_f64 v[113:114], v[94:95], v[58:59]
	v_mul_f64 v[115:116], v[92:93], v[58:59]
	;; [unrolled: 3-line block ×3, first 2 shown]
	s_waitcnt vmcnt(2)
	v_mul_f64 v[133:134], v[82:83], v[74:75]
	v_mul_f64 v[135:136], v[80:81], v[74:75]
	s_waitcnt vmcnt(1)
	v_mul_f64 v[137:138], v[98:99], v[70:71]
	v_mul_f64 v[139:140], v[96:97], v[70:71]
	;; [unrolled: 3-line block ×3, first 2 shown]
	v_fma_f64 v[88:89], v[88:89], v[60:61], -v[109:110]
	v_fma_f64 v[90:91], v[90:91], v[60:61], v[111:112]
	v_fma_f64 v[92:93], v[92:93], v[56:57], -v[113:114]
	v_fma_f64 v[94:95], v[94:95], v[56:57], v[115:116]
	;; [unrolled: 2-line block ×6, first 2 shown]
	v_add_f64 v[109:110], v[88:89], v[104:105]
	v_add_f64 v[111:112], v[90:91], v[106:107]
	;; [unrolled: 1-line block ×4, first 2 shown]
	v_add_f64 v[80:81], v[92:93], -v[80:81]
	v_add_f64 v[82:83], v[94:95], -v[82:83]
	v_add_f64 v[92:93], v[96:97], v[100:101]
	v_add_f64 v[94:95], v[98:99], v[102:103]
	v_add_f64 v[96:97], v[100:101], -v[96:97]
	v_add_f64 v[98:99], v[102:103], -v[98:99]
	;; [unrolled: 1-line block ×4, first 2 shown]
	v_add_f64 v[100:101], v[113:114], v[109:110]
	v_add_f64 v[102:103], v[115:116], v[111:112]
	v_add_f64 v[104:105], v[92:93], -v[113:114]
	v_add_f64 v[106:107], v[94:95], -v[115:116]
	;; [unrolled: 1-line block ×10, first 2 shown]
	v_add_f64 v[80:81], v[96:97], v[80:81]
	v_add_f64 v[82:83], v[98:99], v[82:83]
	v_add_f64 v[96:97], v[88:89], -v[96:97]
	v_add_f64 v[98:99], v[90:91], -v[98:99]
	v_add_f64 v[100:101], v[92:93], v[100:101]
	v_add_f64 v[102:103], v[94:95], v[102:103]
	v_mul_f64 v[113:114], v[104:105], s[2:3]
	v_mul_f64 v[115:116], v[106:107], s[2:3]
	;; [unrolled: 1-line block ×4, first 2 shown]
	s_mov_b32 s4, 0x429ad128
	s_mov_b32 s5, 0x3febfeb5
	v_mul_f64 v[141:142], v[133:134], s[4:5]
	v_mul_f64 v[143:144], v[135:136], s[4:5]
	v_add_f64 v[80:81], v[80:81], v[88:89]
	v_add_f64 v[82:83], v[82:83], v[90:91]
	;; [unrolled: 1-line block ×4, first 2 shown]
	v_mul_f64 v[84:85], v[137:138], s[12:13]
	v_mul_f64 v[86:87], v[139:140], s[12:13]
	s_mov_b32 s12, 0xaaaaaaaa
	s_mov_b32 s13, 0xbff2aaaa
	v_fma_f64 v[88:89], v[109:110], s[14:15], -v[113:114]
	v_fma_f64 v[90:91], v[111:112], s[14:15], -v[115:116]
	s_mov_b32 s15, 0xbfe77f67
	v_fma_f64 v[113:114], v[96:97], s[16:17], v[117:118]
	v_fma_f64 v[115:116], v[98:99], s[16:17], v[119:120]
	s_mov_b32 s17, 0xbfd5d0dc
	v_fma_f64 v[117:118], v[133:134], s[4:5], -v[117:118]
	v_fma_f64 v[119:120], v[135:136], s[4:5], -v[119:120]
	;; [unrolled: 1-line block ×4, first 2 shown]
	v_fma_f64 v[137:138], v[100:101], s[12:13], v[92:93]
	v_fma_f64 v[139:140], v[102:103], s[12:13], v[94:95]
	v_fma_f64 v[109:110], v[109:110], s[14:15], -v[84:85]
	v_fma_f64 v[141:142], v[111:112], s[14:15], -v[86:87]
	v_fma_f64 v[84:85], v[104:105], s[2:3], v[84:85]
	v_fma_f64 v[86:87], v[106:107], s[2:3], v[86:87]
	s_mov_b32 s2, 0x37c3f68c
	s_mov_b32 s3, 0x3fdc38aa
	v_fma_f64 v[100:101], v[80:81], s[2:3], v[113:114]
	v_fma_f64 v[96:97], v[82:83], s[2:3], v[115:116]
	;; [unrolled: 1-line block ×6, first 2 shown]
	v_add_f64 v[102:103], v[88:89], v[137:138]
	v_add_f64 v[119:120], v[90:91], v[139:140]
	;; [unrolled: 1-line block ×7, first 2 shown]
	v_add_f64 v[86:87], v[119:120], -v[115:116]
	v_add_f64 v[88:89], v[106:107], -v[104:105]
	v_add_f64 v[90:91], v[111:112], v[117:118]
	v_add_f64 v[80:81], v[109:110], -v[96:97]
	v_add_f64 v[82:83], v[100:101], v[113:114]
	s_and_saveexec_b32 s2, s1
	s_cbranch_execz .LBB0_15
; %bb.14:
	v_add_f64 v[115:116], v[115:116], v[119:120]
	v_add_f64 v[111:112], v[117:118], -v[111:112]
	v_add_f64 v[119:120], v[113:114], -v[100:101]
	v_add_f64 v[117:118], v[96:97], v[109:110]
	v_add_f64 v[109:110], v[104:105], v[106:107]
	v_add_f64 v[113:114], v[102:103], -v[98:99]
	ds_write_b128 v121, v[92:95]
	ds_write_b128 v121, v[84:87] offset:9600
	ds_write_b128 v121, v[88:91] offset:12000
	;; [unrolled: 1-line block ×6, first 2 shown]
.LBB0_15:
	s_or_b32 exec_lo, exec_lo, s2
	v_add_co_u32 v92, s2, 0x4000, v122
	v_add_co_ci_u32_e64 v93, s2, 0, v123, s2
	v_add_co_u32 v96, s2, 0x6000, v122
	v_add_co_ci_u32_e64 v97, s2, 0, v123, s2
	;; [unrolled: 2-line block ×3, first 2 shown]
	v_add_co_u32 v104, s2, 0x6800, v122
	s_waitcnt lgkmcnt(0)
	s_barrier
	buffer_gl0_inv
	global_load_dwordx4 v[92:95], v[92:93], off offset:416
	v_add_co_ci_u32_e64 v105, s2, 0, v123, s2
	s_clause 0x2
	global_load_dwordx4 v[96:99], v[96:97], off offset:624
	global_load_dwordx4 v[100:103], v[100:101], off offset:1728
	;; [unrolled: 1-line block ×3, first 2 shown]
	ds_read_b128 v[109:112], v121
	ds_read_b128 v[113:116], v121 offset:8400
	ds_read_b128 v[117:120], v121 offset:3360
	;; [unrolled: 1-line block ×3, first 2 shown]
	s_waitcnt vmcnt(3) lgkmcnt(3)
	v_mul_f64 v[137:138], v[111:112], v[94:95]
	v_mul_f64 v[94:95], v[109:110], v[94:95]
	s_waitcnt vmcnt(2) lgkmcnt(2)
	v_mul_f64 v[139:140], v[115:116], v[98:99]
	v_mul_f64 v[98:99], v[113:114], v[98:99]
	;; [unrolled: 3-line block ×4, first 2 shown]
	v_fma_f64 v[109:110], v[109:110], v[92:93], -v[137:138]
	v_fma_f64 v[111:112], v[111:112], v[92:93], v[94:95]
	v_fma_f64 v[92:93], v[113:114], v[96:97], -v[139:140]
	v_fma_f64 v[94:95], v[115:116], v[96:97], v[98:99]
	;; [unrolled: 2-line block ×4, first 2 shown]
	ds_write_b128 v121, v[109:112]
	ds_write_b128 v121, v[92:95] offset:8400
	ds_write_b128 v121, v[96:99] offset:3360
	;; [unrolled: 1-line block ×3, first 2 shown]
	s_and_saveexec_b32 s3, vcc_lo
	s_cbranch_execz .LBB0_17
; %bb.16:
	v_add_co_u32 v94, s2, 0x41a0, v122
	v_add_co_ci_u32_e64 v95, s2, 0, v123, s2
	v_add_co_u32 v92, s2, 0x1800, v94
	v_add_co_ci_u32_e64 v93, s2, 0, v95, s2
	;; [unrolled: 2-line block ×3, first 2 shown]
	s_clause 0x1
	global_load_dwordx4 v[92:95], v[92:93], off offset:576
	global_load_dwordx4 v[96:99], v[96:97], off offset:784
	ds_read_b128 v[100:103], v121 offset:6720
	ds_read_b128 v[104:107], v121 offset:15120
	s_waitcnt vmcnt(1) lgkmcnt(1)
	v_mul_f64 v[109:110], v[102:103], v[94:95]
	v_mul_f64 v[94:95], v[100:101], v[94:95]
	s_waitcnt vmcnt(0) lgkmcnt(0)
	v_mul_f64 v[111:112], v[106:107], v[98:99]
	v_mul_f64 v[113:114], v[104:105], v[98:99]
	v_fma_f64 v[98:99], v[100:101], v[92:93], -v[109:110]
	v_fma_f64 v[100:101], v[102:103], v[92:93], v[94:95]
	v_fma_f64 v[92:93], v[104:105], v[96:97], -v[111:112]
	v_fma_f64 v[94:95], v[106:107], v[96:97], v[113:114]
	ds_write_b128 v121, v[98:101] offset:6720
	ds_write_b128 v121, v[92:95] offset:15120
.LBB0_17:
	s_or_b32 exec_lo, exec_lo, s3
	s_waitcnt lgkmcnt(0)
	s_barrier
	buffer_gl0_inv
	ds_read_b128 v[100:103], v121
	ds_read_b128 v[104:107], v121 offset:3360
	ds_read_b128 v[96:99], v121 offset:8400
	;; [unrolled: 1-line block ×3, first 2 shown]
	s_and_saveexec_b32 s2, vcc_lo
	s_cbranch_execz .LBB0_19
; %bb.18:
	ds_read_b128 v[84:87], v121 offset:6720
	ds_read_b128 v[88:91], v121 offset:15120
.LBB0_19:
	s_or_b32 exec_lo, exec_lo, s2
	s_waitcnt lgkmcnt(1)
	v_add_f64 v[109:110], v[100:101], -v[96:97]
	v_add_f64 v[111:112], v[102:103], -v[98:99]
	s_waitcnt lgkmcnt(0)
	v_add_f64 v[96:97], v[84:85], -v[88:89]
	v_add_f64 v[98:99], v[86:87], -v[90:91]
	;; [unrolled: 1-line block ×4, first 2 shown]
	s_barrier
	buffer_gl0_inv
	v_fma_f64 v[100:101], v[100:101], 2.0, -v[109:110]
	v_fma_f64 v[102:103], v[102:103], 2.0, -v[111:112]
	;; [unrolled: 1-line block ×6, first 2 shown]
	ds_write_b128 v127, v[109:112] offset:16
	ds_write_b128 v127, v[100:103]
	ds_write_b128 v128, v[104:107]
	ds_write_b128 v128, v[92:95] offset:16
	s_and_saveexec_b32 s2, vcc_lo
	s_cbranch_execz .LBB0_21
; %bb.20:
	ds_write_b128 v126, v[88:91]
	ds_write_b128 v126, v[96:99] offset:16
.LBB0_21:
	s_or_b32 exec_lo, exec_lo, s2
	s_waitcnt lgkmcnt(0)
	s_barrier
	buffer_gl0_inv
	ds_read_b128 v[84:87], v121
	ds_read_b128 v[104:107], v121 offset:5600
	ds_read_b128 v[100:103], v121 offset:11200
	s_and_saveexec_b32 s2, s0
	s_cbranch_execz .LBB0_23
; %bb.22:
	ds_read_b128 v[92:95], v121 offset:3360
	ds_read_b128 v[88:91], v121 offset:8960
	;; [unrolled: 1-line block ×3, first 2 shown]
.LBB0_23:
	s_or_b32 exec_lo, exec_lo, s2
	s_waitcnt lgkmcnt(1)
	v_mul_f64 v[109:110], v[22:23], v[106:107]
	v_mul_f64 v[111:112], v[22:23], v[104:105]
	s_waitcnt lgkmcnt(0)
	v_mul_f64 v[113:114], v[18:19], v[102:103]
	v_mul_f64 v[115:116], v[18:19], v[100:101]
	;; [unrolled: 1-line block ×6, first 2 shown]
	s_mov_b32 s4, 0xe8584caa
	s_mov_b32 s5, 0xbfebb67a
	;; [unrolled: 1-line block ×4, first 2 shown]
	s_barrier
	buffer_gl0_inv
	v_fma_f64 v[104:105], v[20:21], v[104:105], v[109:110]
	v_fma_f64 v[106:107], v[20:21], v[106:107], -v[111:112]
	v_fma_f64 v[100:101], v[16:17], v[100:101], v[113:114]
	v_fma_f64 v[102:103], v[16:17], v[102:103], -v[115:116]
	;; [unrolled: 2-line block ×4, first 2 shown]
	v_add_f64 v[113:114], v[84:85], v[104:105]
	v_add_f64 v[16:17], v[104:105], v[100:101]
	;; [unrolled: 1-line block ×3, first 2 shown]
	v_add_f64 v[115:116], v[106:107], -v[102:103]
	v_add_f64 v[106:107], v[86:87], v[106:107]
	v_add_f64 v[109:110], v[22:23], v[20:21]
	;; [unrolled: 1-line block ×3, first 2 shown]
	v_add_f64 v[117:118], v[104:105], -v[100:101]
	v_add_f64 v[96:97], v[90:91], -v[88:89]
	v_add_f64 v[98:99], v[22:23], -v[20:21]
	v_add_f64 v[100:101], v[113:114], v[100:101]
	v_fma_f64 v[16:17], v[16:17], -0.5, v[84:85]
	v_fma_f64 v[18:19], v[18:19], -0.5, v[86:87]
	v_add_f64 v[102:103], v[106:107], v[102:103]
	v_fma_f64 v[84:85], v[109:110], -0.5, v[92:93]
	v_fma_f64 v[86:87], v[111:112], -0.5, v[94:95]
	v_fma_f64 v[104:105], v[115:116], s[4:5], v[16:17]
	v_fma_f64 v[109:110], v[115:116], s[2:3], v[16:17]
	;; [unrolled: 1-line block ×6, first 2 shown]
	ds_write_b128 v130, v[100:103]
	ds_write_b128 v130, v[104:107] offset:32
	ds_write_b128 v130, v[109:112] offset:64
	s_and_saveexec_b32 s4, s0
	s_cbranch_execz .LBB0_25
; %bb.24:
	v_mul_f64 v[98:99], v[98:99], s[2:3]
	v_add_f64 v[90:91], v[94:95], v[90:91]
	v_add_f64 v[92:93], v[92:93], v[22:23]
	v_mul_f64 v[94:95], v[96:97], s[2:3]
	v_add_f64 v[22:23], v[98:99], v[86:87]
	v_add_f64 v[88:89], v[90:91], v[88:89]
	;; [unrolled: 1-line block ×3, first 2 shown]
	v_add_f64 v[20:21], v[84:85], -v[94:95]
	v_mul_u32_u24_e32 v84, 6, v129
	v_or_b32_e32 v84, v84, v125
	v_lshlrev_b32_e32 v84, 4, v84
	ds_write_b128 v84, v[86:89]
	ds_write_b128 v84, v[20:23] offset:32
	ds_write_b128 v84, v[16:19] offset:64
.LBB0_25:
	s_or_b32 exec_lo, exec_lo, s4
	s_waitcnt lgkmcnt(0)
	s_barrier
	buffer_gl0_inv
	ds_read_b128 v[20:23], v121 offset:3360
	ds_read_b128 v[84:87], v121 offset:6720
	;; [unrolled: 1-line block ×4, first 2 shown]
	s_mov_b32 s2, 0x134454ff
	s_mov_b32 s3, 0xbfee6f0e
	;; [unrolled: 1-line block ×10, first 2 shown]
	s_waitcnt lgkmcnt(3)
	v_mul_f64 v[96:97], v[38:39], v[22:23]
	s_waitcnt lgkmcnt(2)
	v_mul_f64 v[98:99], v[34:35], v[86:87]
	;; [unrolled: 2-line block ×3, first 2 shown]
	v_mul_f64 v[34:35], v[34:35], v[84:85]
	v_mul_f64 v[30:31], v[30:31], v[88:89]
	;; [unrolled: 1-line block ×3, first 2 shown]
	s_waitcnt lgkmcnt(0)
	v_mul_f64 v[102:103], v[26:27], v[94:95]
	v_mul_f64 v[26:27], v[26:27], v[92:93]
	v_fma_f64 v[96:97], v[36:37], v[20:21], v[96:97]
	v_fma_f64 v[84:85], v[32:33], v[84:85], v[98:99]
	;; [unrolled: 1-line block ×3, first 2 shown]
	v_fma_f64 v[32:33], v[32:33], v[86:87], -v[34:35]
	v_fma_f64 v[28:29], v[28:29], v[90:91], -v[30:31]
	;; [unrolled: 1-line block ×3, first 2 shown]
	v_fma_f64 v[38:39], v[24:25], v[92:93], v[102:103]
	v_fma_f64 v[24:25], v[24:25], v[94:95], -v[26:27]
	ds_read_b128 v[20:23], v121
	s_waitcnt lgkmcnt(0)
	s_barrier
	buffer_gl0_inv
	v_add_f64 v[26:27], v[84:85], v[88:89]
	v_add_f64 v[34:35], v[32:33], v[28:29]
	v_add_f64 v[94:95], v[32:33], -v[28:29]
	v_add_f64 v[30:31], v[96:97], v[38:39]
	v_add_f64 v[86:87], v[36:37], v[24:25]
	;; [unrolled: 1-line block ×4, first 2 shown]
	v_add_f64 v[92:93], v[36:37], -v[24:25]
	v_add_f64 v[100:101], v[96:97], -v[38:39]
	;; [unrolled: 1-line block ×8, first 2 shown]
	v_fma_f64 v[26:27], v[26:27], -0.5, v[20:21]
	v_fma_f64 v[34:35], v[34:35], -0.5, v[22:23]
	;; [unrolled: 1-line block ×3, first 2 shown]
	v_add_f64 v[30:31], v[84:85], -v[88:89]
	v_fma_f64 v[22:23], v[86:87], -0.5, v[22:23]
	v_add_f64 v[86:87], v[96:97], -v[84:85]
	v_add_f64 v[96:97], v[84:85], -v[96:97]
	v_add_f64 v[84:85], v[90:91], v[84:85]
	v_add_f64 v[32:33], v[98:99], v[32:33]
	v_fma_f64 v[90:91], v[92:93], s[2:3], v[26:27]
	v_fma_f64 v[26:27], v[92:93], s[4:5], v[26:27]
	;; [unrolled: 1-line block ×8, first 2 shown]
	v_add_f64 v[96:97], v[96:97], v[104:105]
	v_add_f64 v[104:105], v[36:37], v[111:112]
	;; [unrolled: 1-line block ×6, first 2 shown]
	v_fma_f64 v[32:33], v[94:95], s[12:13], v[90:91]
	v_fma_f64 v[26:27], v[94:95], s[14:15], v[26:27]
	;; [unrolled: 1-line block ×8, first 2 shown]
	v_add_f64 v[20:21], v[36:37], v[38:39]
	v_add_f64 v[22:23], v[28:29], v[24:25]
	v_fma_f64 v[24:25], v[86:87], s[16:17], v[32:33]
	v_fma_f64 v[28:29], v[86:87], s[16:17], v[26:27]
	;; [unrolled: 1-line block ×8, first 2 shown]
	ds_write_b128 v131, v[20:23]
	ds_write_b128 v131, v[24:27] offset:96
	ds_write_b128 v131, v[32:35] offset:192
	;; [unrolled: 1-line block ×4, first 2 shown]
	s_waitcnt lgkmcnt(0)
	s_barrier
	buffer_gl0_inv
	ds_read_b128 v[20:23], v121 offset:3360
	ds_read_b128 v[24:27], v121 offset:6720
	;; [unrolled: 1-line block ×4, first 2 shown]
	s_waitcnt lgkmcnt(3)
	v_mul_f64 v[36:37], v[54:55], v[22:23]
	s_waitcnt lgkmcnt(2)
	v_mul_f64 v[38:39], v[50:51], v[26:27]
	;; [unrolled: 2-line block ×3, first 2 shown]
	v_mul_f64 v[54:55], v[54:55], v[20:21]
	s_waitcnt lgkmcnt(0)
	v_mul_f64 v[86:87], v[42:43], v[34:35]
	v_mul_f64 v[50:51], v[50:51], v[24:25]
	;; [unrolled: 1-line block ×4, first 2 shown]
	v_fma_f64 v[36:37], v[52:53], v[20:21], v[36:37]
	v_fma_f64 v[24:25], v[48:49], v[24:25], v[38:39]
	;; [unrolled: 1-line block ×3, first 2 shown]
	v_fma_f64 v[38:39], v[52:53], v[22:23], -v[54:55]
	v_fma_f64 v[32:33], v[40:41], v[32:33], v[86:87]
	v_fma_f64 v[26:27], v[48:49], v[26:27], -v[50:51]
	v_fma_f64 v[30:31], v[44:45], v[30:31], -v[46:47]
	v_fma_f64 v[34:35], v[40:41], v[34:35], -v[42:43]
	ds_read_b128 v[20:23], v121
	s_waitcnt lgkmcnt(0)
	s_barrier
	buffer_gl0_inv
	v_add_f64 v[40:41], v[24:25], v[28:29]
	v_add_f64 v[42:43], v[36:37], v[32:33]
	v_add_f64 v[84:85], v[36:37], -v[32:33]
	v_add_f64 v[44:45], v[26:27], v[30:31]
	v_add_f64 v[46:47], v[38:39], v[34:35]
	;; [unrolled: 1-line block ×3, first 2 shown]
	v_add_f64 v[50:51], v[38:39], -v[34:35]
	v_add_f64 v[52:53], v[26:27], -v[30:31]
	v_add_f64 v[54:55], v[22:23], v[38:39]
	v_add_f64 v[86:87], v[32:33], -v[28:29]
	v_add_f64 v[88:89], v[28:29], -v[32:33]
	;; [unrolled: 1-line block ×6, first 2 shown]
	v_fma_f64 v[40:41], v[40:41], -0.5, v[20:21]
	v_fma_f64 v[20:21], v[42:43], -0.5, v[20:21]
	v_add_f64 v[42:43], v[24:25], -v[28:29]
	v_fma_f64 v[44:45], v[44:45], -0.5, v[22:23]
	v_fma_f64 v[22:23], v[46:47], -0.5, v[22:23]
	v_add_f64 v[46:47], v[36:37], -v[24:25]
	v_add_f64 v[36:37], v[24:25], -v[36:37]
	v_add_f64 v[24:25], v[48:49], v[24:25]
	v_add_f64 v[26:27], v[54:55], v[26:27]
	;; [unrolled: 1-line block ×3, first 2 shown]
	v_fma_f64 v[48:49], v[50:51], s[2:3], v[40:41]
	v_fma_f64 v[40:41], v[50:51], s[4:5], v[40:41]
	;; [unrolled: 1-line block ×8, first 2 shown]
	v_add_f64 v[46:47], v[46:47], v[86:87]
	v_add_f64 v[86:87], v[36:37], v[88:89]
	;; [unrolled: 1-line block ×5, first 2 shown]
	v_fma_f64 v[28:29], v[52:53], s[12:13], v[48:49]
	v_fma_f64 v[30:31], v[52:53], s[14:15], v[40:41]
	;; [unrolled: 1-line block ×8, first 2 shown]
	v_add_f64 v[20:21], v[24:25], v[32:33]
	v_add_f64 v[22:23], v[26:27], v[34:35]
	v_fma_f64 v[24:25], v[46:47], s[16:17], v[28:29]
	v_fma_f64 v[36:37], v[46:47], s[16:17], v[30:31]
	;; [unrolled: 1-line block ×8, first 2 shown]
	ds_write_b128 v132, v[20:23]
	ds_write_b128 v132, v[24:27] offset:480
	ds_write_b128 v132, v[28:31] offset:960
	;; [unrolled: 1-line block ×4, first 2 shown]
	s_waitcnt lgkmcnt(0)
	s_barrier
	buffer_gl0_inv
	s_and_saveexec_b32 s0, s1
	s_cbranch_execz .LBB0_27
; %bb.26:
	ds_read_b128 v[20:23], v121
	ds_read_b128 v[24:27], v121 offset:2400
	ds_read_b128 v[28:31], v121 offset:4800
	;; [unrolled: 1-line block ×6, first 2 shown]
.LBB0_27:
	s_or_b32 exec_lo, exec_lo, s0
	s_and_saveexec_b32 s0, s1
	s_cbranch_execz .LBB0_29
; %bb.28:
	s_waitcnt lgkmcnt(0)
	v_mul_f64 v[40:41], v[78:79], v[80:81]
	v_mul_f64 v[42:43], v[62:63], v[24:25]
	;; [unrolled: 1-line block ×12, first 2 shown]
	s_mov_b32 s2, 0xe976ee23
	s_mov_b32 s3, 0x3fe11646
	;; [unrolled: 1-line block ×10, first 2 shown]
	v_fma_f64 v[40:41], v[76:77], v[82:83], -v[40:41]
	v_fma_f64 v[26:27], v[60:61], v[26:27], -v[42:43]
	;; [unrolled: 1-line block ×4, first 2 shown]
	v_fma_f64 v[24:25], v[60:61], v[24:25], v[48:49]
	v_fma_f64 v[42:43], v[76:77], v[80:81], v[50:51]
	;; [unrolled: 1-line block ×6, first 2 shown]
	v_fma_f64 v[34:35], v[68:69], v[34:35], -v[70:71]
	v_fma_f64 v[38:39], v[64:65], v[38:39], -v[66:67]
	v_add_f64 v[44:45], v[26:27], v[40:41]
	v_add_f64 v[26:27], v[26:27], -v[40:41]
	v_add_f64 v[46:47], v[30:31], v[18:19]
	v_add_f64 v[30:31], v[30:31], -v[18:19]
	;; [unrolled: 2-line block ×4, first 2 shown]
	v_add_f64 v[52:53], v[36:37], -v[32:33]
	v_add_f64 v[18:19], v[32:33], v[36:37]
	v_add_f64 v[28:29], v[34:35], v[38:39]
	v_add_f64 v[34:35], v[38:39], -v[34:35]
	v_add_f64 v[32:33], v[46:47], v[44:45]
	v_add_f64 v[58:59], v[30:31], -v[26:27]
	;; [unrolled: 2-line block ×3, first 2 shown]
	v_add_f64 v[38:39], v[52:53], -v[16:17]
	v_add_f64 v[54:55], v[48:49], -v[18:19]
	;; [unrolled: 1-line block ×6, first 2 shown]
	v_add_f64 v[52:53], v[52:53], v[16:17]
	v_add_f64 v[64:65], v[26:27], -v[34:35]
	v_add_f64 v[44:45], v[46:47], -v[44:45]
	v_add_f64 v[32:33], v[28:29], v[32:33]
	v_add_f64 v[28:29], v[28:29], -v[46:47]
	v_add_f64 v[46:47], v[50:51], -v[48:49]
	v_add_f64 v[36:37], v[18:19], v[36:37]
	v_mul_f64 v[50:51], v[56:57], s[12:13]
	v_mul_f64 v[38:39], v[38:39], s[2:3]
	;; [unrolled: 1-line block ×5, first 2 shown]
	s_mov_b32 s2, 0x36b3c0b5
	s_mov_b32 s3, 0x3fac98ee
	;; [unrolled: 1-line block ×4, first 2 shown]
	v_add_f64 v[24:25], v[52:53], v[24:25]
	v_add_f64 v[18:19], v[22:23], v[32:33]
	;; [unrolled: 1-line block ×3, first 2 shown]
	v_mul_f64 v[30:31], v[28:29], s[2:3]
	v_mul_f64 v[34:35], v[58:59], s[12:13]
	v_add_f64 v[16:17], v[20:21], v[36:37]
	v_mul_f64 v[20:21], v[60:61], s[2:3]
	v_fma_f64 v[52:53], v[62:63], s[4:5], v[38:39]
	v_fma_f64 v[66:67], v[46:47], s[16:17], -v[48:49]
	v_fma_f64 v[28:29], v[28:29], s[2:3], v[40:41]
	v_fma_f64 v[54:55], v[64:65], s[4:5], v[42:43]
	s_mov_b32 s5, 0x3fd5d0dc
	v_fma_f64 v[40:41], v[44:45], s[16:17], -v[40:41]
	s_mov_b32 s17, 0x3fe77f67
	v_fma_f64 v[38:39], v[56:57], s[12:13], -v[38:39]
	v_fma_f64 v[50:51], v[62:63], s[4:5], -v[50:51]
	;; [unrolled: 1-line block ×3, first 2 shown]
	v_fma_f64 v[32:33], v[32:33], s[14:15], v[18:19]
	v_add_f64 v[22:23], v[22:23], v[26:27]
	v_fma_f64 v[26:27], v[44:45], s[16:17], -v[30:31]
	v_fma_f64 v[30:31], v[60:61], s[2:3], v[48:49]
	v_fma_f64 v[36:37], v[36:37], s[14:15], v[16:17]
	v_fma_f64 v[34:35], v[64:65], s[4:5], -v[34:35]
	v_fma_f64 v[20:21], v[46:47], s[16:17], -v[20:21]
	s_mov_b32 s2, 0x37c3f68c
	s_mov_b32 s3, 0xbfdc38aa
	v_fma_f64 v[44:45], v[24:25], s[2:3], v[52:53]
	v_fma_f64 v[38:39], v[24:25], s[2:3], v[38:39]
	;; [unrolled: 1-line block ×3, first 2 shown]
	v_add_f64 v[28:29], v[28:29], v[32:33]
	v_add_f64 v[40:41], v[40:41], v[32:33]
	;; [unrolled: 1-line block ×3, first 2 shown]
	v_fma_f64 v[46:47], v[22:23], s[2:3], v[54:55]
	v_add_f64 v[52:53], v[30:31], v[36:37]
	v_fma_f64 v[50:51], v[22:23], s[2:3], v[34:35]
	v_add_f64 v[54:55], v[66:67], v[36:37]
	;; [unrolled: 2-line block ×3, first 2 shown]
	v_add_f64 v[42:43], v[28:29], -v[44:45]
	v_add_f64 v[26:27], v[24:25], v[40:41]
	v_add_f64 v[30:31], v[32:33], -v[38:39]
	v_add_f64 v[34:35], v[38:39], v[32:33]
	;; [unrolled: 2-line block ×3, first 2 shown]
	v_add_f64 v[36:37], v[50:51], v[54:55]
	v_add_f64 v[22:23], v[44:45], v[28:29]
	v_add_f64 v[32:33], v[20:21], -v[48:49]
	v_add_f64 v[28:29], v[48:49], v[20:21]
	v_add_f64 v[24:25], v[54:55], -v[50:51]
	v_add_f64 v[20:21], v[52:53], -v[46:47]
	ds_write_b128 v121, v[16:19]
	ds_write_b128 v121, v[40:43] offset:2400
	ds_write_b128 v121, v[36:39] offset:4800
	;; [unrolled: 1-line block ×6, first 2 shown]
.LBB0_29:
	s_or_b32 exec_lo, exec_lo, s0
	s_waitcnt lgkmcnt(0)
	s_barrier
	buffer_gl0_inv
	ds_read_b128 v[16:19], v121
	ds_read_b128 v[20:23], v121 offset:8400
	ds_read_b128 v[24:27], v121 offset:3360
	;; [unrolled: 1-line block ×3, first 2 shown]
	v_mad_u64_u32 v[32:33], null, s10, v108, 0
	v_mad_u64_u32 v[42:43], null, s8, v124, 0
	s_mul_i32 s1, s9, 0x20d
	s_mul_hi_u32 s4, s8, 0x20d
	s_mul_i32 s0, s8, 0x20d
	s_mul_hi_u32 s5, s8, 0xfffffec5
	s_add_i32 s1, s4, s1
	s_mul_i32 s10, s8, 0xfffffec5
	s_sub_i32 s8, s5, s8
	s_lshl_b64 s[4:5], s[0:1], 4
	s_mov_b32 s2, 0x859b8cec
	s_mov_b32 s3, 0x3f4f3526
	s_waitcnt lgkmcnt(3)
	v_mul_f64 v[34:35], v[2:3], v[18:19]
	v_mul_f64 v[2:3], v[2:3], v[16:17]
	s_waitcnt lgkmcnt(2)
	v_mul_f64 v[36:37], v[6:7], v[22:23]
	v_mul_f64 v[6:7], v[6:7], v[20:21]
	;; [unrolled: 3-line block ×4, first 2 shown]
	v_mad_u64_u32 v[44:45], null, s11, v108, v[33:34]
	v_fma_f64 v[16:17], v[0:1], v[16:17], v[34:35]
	v_fma_f64 v[0:1], v[0:1], v[18:19], -v[2:3]
	v_fma_f64 v[18:19], v[4:5], v[20:21], v[36:37]
	v_fma_f64 v[20:21], v[4:5], v[22:23], -v[6:7]
	;; [unrolled: 2-line block ×3, first 2 shown]
	v_mad_u64_u32 v[45:46], null, s9, v124, v[43:44]
	v_fma_f64 v[26:27], v[12:13], v[28:29], v[40:41]
	v_fma_f64 v[28:29], v[12:13], v[30:31], -v[14:15]
	v_mov_b32_e32 v33, v44
	s_mulk_i32 s9, 0xfec5
	s_add_i32 s11, s8, s9
	v_mov_b32_e32 v43, v45
	v_lshlrev_b64 v[2:3], 4, v[32:33]
	v_lshlrev_b64 v[30:31], 4, v[42:43]
	v_add_co_u32 v32, s0, s6, v2
	v_add_co_ci_u32_e64 v33, s0, s7, v3, s0
	v_mul_f64 v[2:3], v[16:17], s[2:3]
	v_mul_f64 v[4:5], v[0:1], s[2:3]
	;; [unrolled: 1-line block ×3, first 2 shown]
	v_add_co_u32 v18, s0, v32, v30
	v_mul_f64 v[8:9], v[20:21], s[2:3]
	v_mul_f64 v[10:11], v[22:23], s[2:3]
	;; [unrolled: 1-line block ×3, first 2 shown]
	v_add_co_ci_u32_e64 v19, s0, v33, v31, s0
	v_mul_f64 v[14:15], v[26:27], s[2:3]
	v_mul_f64 v[16:17], v[28:29], s[2:3]
	v_add_co_u32 v20, s0, v18, s4
	v_add_co_ci_u32_e64 v21, s0, s5, v19, s0
	s_lshl_b64 s[6:7], s[10:11], 4
	v_add_co_u32 v22, s0, v20, s6
	v_add_co_ci_u32_e64 v23, s0, s7, v21, s0
	v_add_co_u32 v0, s0, v22, s4
	v_add_co_ci_u32_e64 v1, s0, s5, v23, s0
	global_store_dwordx4 v[18:19], v[2:5], off
	global_store_dwordx4 v[20:21], v[6:9], off
	;; [unrolled: 1-line block ×4, first 2 shown]
	s_and_b32 exec_lo, exec_lo, vcc_lo
	s_cbranch_execz .LBB0_31
; %bb.30:
	v_add_co_u32 v2, vcc_lo, 0x1800, v122
	v_add_co_ci_u32_e32 v3, vcc_lo, 0, v123, vcc_lo
	v_add_co_u32 v6, vcc_lo, 0x3800, v122
	v_add_co_ci_u32_e32 v7, vcc_lo, 0, v123, vcc_lo
	v_add_co_u32 v0, vcc_lo, v0, s6
	s_clause 0x1
	global_load_dwordx4 v[2:5], v[2:3], off offset:576
	global_load_dwordx4 v[6:9], v[6:7], off offset:784
	ds_read_b128 v[10:13], v121 offset:6720
	ds_read_b128 v[14:17], v121 offset:15120
	v_add_co_ci_u32_e32 v1, vcc_lo, s7, v1, vcc_lo
	s_waitcnt vmcnt(1) lgkmcnt(1)
	v_mul_f64 v[18:19], v[12:13], v[4:5]
	v_mul_f64 v[4:5], v[10:11], v[4:5]
	s_waitcnt vmcnt(0) lgkmcnt(0)
	v_mul_f64 v[20:21], v[16:17], v[8:9]
	v_mul_f64 v[8:9], v[14:15], v[8:9]
	v_fma_f64 v[10:11], v[10:11], v[2:3], v[18:19]
	v_fma_f64 v[4:5], v[2:3], v[12:13], -v[4:5]
	v_fma_f64 v[12:13], v[14:15], v[6:7], v[20:21]
	v_fma_f64 v[8:9], v[6:7], v[16:17], -v[8:9]
	v_mul_f64 v[2:3], v[10:11], s[2:3]
	v_mul_f64 v[4:5], v[4:5], s[2:3]
	;; [unrolled: 1-line block ×4, first 2 shown]
	v_add_co_u32 v10, vcc_lo, v0, s4
	v_add_co_ci_u32_e32 v11, vcc_lo, s5, v1, vcc_lo
	global_store_dwordx4 v[0:1], v[2:5], off
	global_store_dwordx4 v[10:11], v[6:9], off
.LBB0_31:
	s_endpgm
	.section	.rodata,"a",@progbits
	.p2align	6, 0x0
	.amdhsa_kernel bluestein_single_back_len1050_dim1_dp_op_CI_CI
		.amdhsa_group_segment_fixed_size 16800
		.amdhsa_private_segment_fixed_size 0
		.amdhsa_kernarg_size 104
		.amdhsa_user_sgpr_count 6
		.amdhsa_user_sgpr_private_segment_buffer 1
		.amdhsa_user_sgpr_dispatch_ptr 0
		.amdhsa_user_sgpr_queue_ptr 0
		.amdhsa_user_sgpr_kernarg_segment_ptr 1
		.amdhsa_user_sgpr_dispatch_id 0
		.amdhsa_user_sgpr_flat_scratch_init 0
		.amdhsa_user_sgpr_private_segment_size 0
		.amdhsa_wavefront_size32 1
		.amdhsa_uses_dynamic_stack 0
		.amdhsa_system_sgpr_private_segment_wavefront_offset 0
		.amdhsa_system_sgpr_workgroup_id_x 1
		.amdhsa_system_sgpr_workgroup_id_y 0
		.amdhsa_system_sgpr_workgroup_id_z 0
		.amdhsa_system_sgpr_workgroup_info 0
		.amdhsa_system_vgpr_workitem_id 0
		.amdhsa_next_free_vgpr 145
		.amdhsa_next_free_sgpr 20
		.amdhsa_reserve_vcc 1
		.amdhsa_reserve_flat_scratch 0
		.amdhsa_float_round_mode_32 0
		.amdhsa_float_round_mode_16_64 0
		.amdhsa_float_denorm_mode_32 3
		.amdhsa_float_denorm_mode_16_64 3
		.amdhsa_dx10_clamp 1
		.amdhsa_ieee_mode 1
		.amdhsa_fp16_overflow 0
		.amdhsa_workgroup_processor_mode 1
		.amdhsa_memory_ordered 1
		.amdhsa_forward_progress 0
		.amdhsa_shared_vgpr_count 0
		.amdhsa_exception_fp_ieee_invalid_op 0
		.amdhsa_exception_fp_denorm_src 0
		.amdhsa_exception_fp_ieee_div_zero 0
		.amdhsa_exception_fp_ieee_overflow 0
		.amdhsa_exception_fp_ieee_underflow 0
		.amdhsa_exception_fp_ieee_inexact 0
		.amdhsa_exception_int_div_zero 0
	.end_amdhsa_kernel
	.text
.Lfunc_end0:
	.size	bluestein_single_back_len1050_dim1_dp_op_CI_CI, .Lfunc_end0-bluestein_single_back_len1050_dim1_dp_op_CI_CI
                                        ; -- End function
	.section	.AMDGPU.csdata,"",@progbits
; Kernel info:
; codeLenInByte = 9468
; NumSgprs: 22
; NumVgprs: 145
; ScratchSize: 0
; MemoryBound: 0
; FloatMode: 240
; IeeeMode: 1
; LDSByteSize: 16800 bytes/workgroup (compile time only)
; SGPRBlocks: 2
; VGPRBlocks: 18
; NumSGPRsForWavesPerEU: 22
; NumVGPRsForWavesPerEU: 145
; Occupancy: 6
; WaveLimiterHint : 1
; COMPUTE_PGM_RSRC2:SCRATCH_EN: 0
; COMPUTE_PGM_RSRC2:USER_SGPR: 6
; COMPUTE_PGM_RSRC2:TRAP_HANDLER: 0
; COMPUTE_PGM_RSRC2:TGID_X_EN: 1
; COMPUTE_PGM_RSRC2:TGID_Y_EN: 0
; COMPUTE_PGM_RSRC2:TGID_Z_EN: 0
; COMPUTE_PGM_RSRC2:TIDIG_COMP_CNT: 0
	.text
	.p2alignl 6, 3214868480
	.fill 48, 4, 3214868480
	.type	__hip_cuid_6819d60bd3b42cfb,@object ; @__hip_cuid_6819d60bd3b42cfb
	.section	.bss,"aw",@nobits
	.globl	__hip_cuid_6819d60bd3b42cfb
__hip_cuid_6819d60bd3b42cfb:
	.byte	0                               ; 0x0
	.size	__hip_cuid_6819d60bd3b42cfb, 1

	.ident	"AMD clang version 19.0.0git (https://github.com/RadeonOpenCompute/llvm-project roc-6.4.0 25133 c7fe45cf4b819c5991fe208aaa96edf142730f1d)"
	.section	".note.GNU-stack","",@progbits
	.addrsig
	.addrsig_sym __hip_cuid_6819d60bd3b42cfb
	.amdgpu_metadata
---
amdhsa.kernels:
  - .args:
      - .actual_access:  read_only
        .address_space:  global
        .offset:         0
        .size:           8
        .value_kind:     global_buffer
      - .actual_access:  read_only
        .address_space:  global
        .offset:         8
        .size:           8
        .value_kind:     global_buffer
      - .actual_access:  read_only
        .address_space:  global
        .offset:         16
        .size:           8
        .value_kind:     global_buffer
      - .actual_access:  read_only
        .address_space:  global
        .offset:         24
        .size:           8
        .value_kind:     global_buffer
      - .actual_access:  read_only
        .address_space:  global
        .offset:         32
        .size:           8
        .value_kind:     global_buffer
      - .offset:         40
        .size:           8
        .value_kind:     by_value
      - .address_space:  global
        .offset:         48
        .size:           8
        .value_kind:     global_buffer
      - .address_space:  global
        .offset:         56
        .size:           8
        .value_kind:     global_buffer
      - .address_space:  global
        .offset:         64
        .size:           8
        .value_kind:     global_buffer
      - .address_space:  global
        .offset:         72
        .size:           8
        .value_kind:     global_buffer
      - .offset:         80
        .size:           4
        .value_kind:     by_value
      - .address_space:  global
        .offset:         88
        .size:           8
        .value_kind:     global_buffer
      - .address_space:  global
        .offset:         96
        .size:           8
        .value_kind:     global_buffer
    .group_segment_fixed_size: 16800
    .kernarg_segment_align: 8
    .kernarg_segment_size: 104
    .language:       OpenCL C
    .language_version:
      - 2
      - 0
    .max_flat_workgroup_size: 210
    .name:           bluestein_single_back_len1050_dim1_dp_op_CI_CI
    .private_segment_fixed_size: 0
    .sgpr_count:     22
    .sgpr_spill_count: 0
    .symbol:         bluestein_single_back_len1050_dim1_dp_op_CI_CI.kd
    .uniform_work_group_size: 1
    .uses_dynamic_stack: false
    .vgpr_count:     145
    .vgpr_spill_count: 0
    .wavefront_size: 32
    .workgroup_processor_mode: 1
amdhsa.target:   amdgcn-amd-amdhsa--gfx1030
amdhsa.version:
  - 1
  - 2
...

	.end_amdgpu_metadata
